;; amdgpu-corpus repo=ROCm/rocFFT kind=compiled arch=gfx1201 opt=O3
	.text
	.amdgcn_target "amdgcn-amd-amdhsa--gfx1201"
	.amdhsa_code_object_version 6
	.protected	fft_rtc_back_len243_factors_3_3_3_3_3_wgs_243_tpt_81_dp_ip_CI_sbcc_twdbase6_3step ; -- Begin function fft_rtc_back_len243_factors_3_3_3_3_3_wgs_243_tpt_81_dp_ip_CI_sbcc_twdbase6_3step
	.globl	fft_rtc_back_len243_factors_3_3_3_3_3_wgs_243_tpt_81_dp_ip_CI_sbcc_twdbase6_3step
	.p2align	8
	.type	fft_rtc_back_len243_factors_3_3_3_3_3_wgs_243_tpt_81_dp_ip_CI_sbcc_twdbase6_3step,@function
fft_rtc_back_len243_factors_3_3_3_3_3_wgs_243_tpt_81_dp_ip_CI_sbcc_twdbase6_3step: ; @fft_rtc_back_len243_factors_3_3_3_3_3_wgs_243_tpt_81_dp_ip_CI_sbcc_twdbase6_3step
; %bb.0:
	s_load_b256 s[4:11], s[0:1], 0x8
	s_mov_b32 s16, ttmp9
	s_mov_b32 s2, exec_lo
	v_cmpx_gt_u32_e32 0xc0, v0
	s_cbranch_execz .LBB0_2
; %bb.1:
	v_lshlrev_b32_e32 v5, 4, v0
	s_wait_kmcnt 0x0
	global_load_b128 v[1:4], v5, s[4:5]
	v_add3_u32 v5, 0, v5, 0x2d90
	s_wait_loadcnt 0x0
	ds_store_2addr_b64 v5, v[1:2], v[3:4] offset1:1
.LBB0_2:
	s_or_b32 exec_lo, exec_lo, s2
	s_mov_b32 s17, 0
	s_mov_b32 s2, 0x55500000
	s_movk_i32 s3, 0x155
	s_wait_kmcnt 0x0
	s_mov_b32 s4, s17
	s_mov_b32 s5, s17
	s_mov_b32 s19, s17
	s_add_nc_u64 s[2:3], s[4:5], s[2:3]
	s_load_b64 s[4:5], s[8:9], 0x8
	s_add_co_i32 s3, s3, 0x55555400
	s_mov_b64 s[24:25], 0
	s_mul_u64 s[12:13], s[2:3], -3
	s_delay_alu instid0(SALU_CYCLE_1)
	s_mul_hi_u32 s15, s2, s13
	s_mul_i32 s14, s2, s13
	s_mul_hi_u32 s18, s2, s12
	s_mul_hi_u32 s20, s3, s12
	s_mul_i32 s12, s3, s12
	s_add_nc_u64 s[14:15], s[18:19], s[14:15]
	s_mul_hi_u32 s18, s3, s13
	s_add_co_u32 s12, s14, s12
	s_add_co_ci_u32 s12, s15, s20
	s_add_co_ci_u32 s15, s18, 0
	s_mul_i32 s14, s3, s13
	s_mov_b32 s13, s17
	s_delay_alu instid0(SALU_CYCLE_1) | instskip(NEXT) | instid1(SALU_CYCLE_1)
	s_add_nc_u64 s[12:13], s[12:13], s[14:15]
	v_add_co_u32 v1, s2, s2, s12
	s_delay_alu instid0(VALU_DEP_1)
	s_cmp_lg_u32 s2, 0
	s_wait_kmcnt 0x0
	s_add_nc_u64 s[14:15], s[4:5], -1
	s_add_co_ci_u32 s19, s3, s13
	v_readfirstlane_b32 s18, v1
	s_mul_hi_u32 s3, s14, s19
	s_mul_i32 s2, s14, s19
	s_mov_b32 s13, s17
	s_delay_alu instid0(VALU_DEP_1)
	s_mul_hi_u32 s12, s14, s18
	s_wait_alu 0xfffe
	s_add_nc_u64 s[2:3], s[12:13], s[2:3]
	s_mul_i32 s13, s15, s18
	s_mul_hi_u32 s18, s15, s18
	s_mul_hi_u32 s12, s15, s19
	s_wait_alu 0xfffe
	s_add_co_u32 s2, s2, s13
	s_add_co_ci_u32 s2, s3, s18
	s_add_co_ci_u32 s13, s12, 0
	s_mul_i32 s12, s15, s19
	s_mov_b32 s3, s17
	s_wait_alu 0xfffe
	s_add_nc_u64 s[2:3], s[2:3], s[12:13]
	s_wait_alu 0xfffe
	s_mul_u64 s[12:13], s[2:3], 3
	s_wait_alu 0xfffe
	v_sub_co_u32 v1, s12, s14, s12
	s_delay_alu instid0(VALU_DEP_1) | instskip(SKIP_1) | instid1(VALU_DEP_1)
	s_cmp_lg_u32 s12, 0
	s_sub_co_ci_u32 s18, s15, s13
	v_sub_co_u32 v2, s14, v1, 3
	s_delay_alu instid0(VALU_DEP_1) | instskip(SKIP_2) | instid1(VALU_DEP_2)
	s_cmp_lg_u32 s14, 0
	v_readfirstlane_b32 s20, v1
	s_sub_co_ci_u32 s14, s18, 0
	v_readfirstlane_b32 s12, v2
	s_delay_alu instid0(VALU_DEP_1)
	s_cmp_gt_u32 s12, 2
	s_add_nc_u64 s[12:13], s[2:3], 1
	s_cselect_b32 s19, -1, 0
	s_wait_alu 0xfffe
	s_cmp_eq_u32 s14, 0
	s_add_nc_u64 s[14:15], s[2:3], 2
	s_cselect_b32 s19, s19, -1
	s_delay_alu instid0(SALU_CYCLE_1)
	s_cmp_lg_u32 s19, 0
	s_wait_alu 0xfffe
	s_cselect_b32 s12, s14, s12
	s_cselect_b32 s13, s15, s13
	s_cmp_gt_u32 s20, 2
	s_cselect_b32 s14, -1, 0
	s_cmp_eq_u32 s18, 0
	s_wait_alu 0xfffe
	s_cselect_b32 s14, s14, -1
	s_wait_alu 0xfffe
	s_cmp_lg_u32 s14, 0
	s_cselect_b32 s3, s13, s3
	s_cselect_b32 s2, s12, s2
	s_wait_alu 0xfffe
	s_add_nc_u64 s[20:21], s[2:3], 1
	s_delay_alu instid0(SALU_CYCLE_1) | instskip(NEXT) | instid1(VALU_DEP_1)
	v_cmp_lt_u64_e64 s2, s[16:17], s[20:21]
	s_and_b32 vcc_lo, exec_lo, s2
	s_cbranch_vccnz .LBB0_4
; %bb.3:
	v_cvt_f32_u32_e32 v1, s20
	s_sub_co_i32 s3, 0, s20
	s_mov_b32 s25, s17
	s_delay_alu instid0(VALU_DEP_1) | instskip(NEXT) | instid1(TRANS32_DEP_1)
	v_rcp_iflag_f32_e32 v1, v1
	v_mul_f32_e32 v1, 0x4f7ffffe, v1
	s_delay_alu instid0(VALU_DEP_1) | instskip(NEXT) | instid1(VALU_DEP_1)
	v_cvt_u32_f32_e32 v1, v1
	v_readfirstlane_b32 s2, v1
	s_wait_alu 0xfffe
	s_delay_alu instid0(VALU_DEP_1)
	s_mul_i32 s3, s3, s2
	s_wait_alu 0xfffe
	s_mul_hi_u32 s3, s2, s3
	s_wait_alu 0xfffe
	s_add_co_i32 s2, s2, s3
	s_wait_alu 0xfffe
	s_mul_hi_u32 s2, s16, s2
	s_wait_alu 0xfffe
	s_mul_i32 s3, s2, s20
	s_add_co_i32 s12, s2, 1
	s_wait_alu 0xfffe
	s_sub_co_i32 s3, s16, s3
	s_wait_alu 0xfffe
	s_sub_co_i32 s13, s3, s20
	s_cmp_ge_u32 s3, s20
	s_cselect_b32 s2, s12, s2
	s_wait_alu 0xfffe
	s_cselect_b32 s3, s13, s3
	s_add_co_i32 s12, s2, 1
	s_wait_alu 0xfffe
	s_cmp_ge_u32 s3, s20
	s_cselect_b32 s24, s12, s2
.LBB0_4:
	s_load_b128 s[12:15], s[10:11], 0x0
	s_load_b64 s[2:3], s[0:1], 0x0
	v_cmp_lt_u64_e64 s22, s[6:7], 3
	s_mul_u64 s[18:19], s[24:25], s[20:21]
	s_delay_alu instid0(SALU_CYCLE_1) | instskip(NEXT) | instid1(SALU_CYCLE_1)
	s_sub_nc_u64 s[18:19], s[16:17], s[18:19]
	s_mul_u64 s[18:19], s[18:19], 3
	s_delay_alu instid0(VALU_DEP_1)
	s_and_b32 vcc_lo, exec_lo, s22
	s_wait_kmcnt 0x0
	s_mul_u64 s[22:23], s[14:15], s[18:19]
	s_cbranch_vccnz .LBB0_14
; %bb.5:
	s_add_nc_u64 s[26:27], s[10:11], 16
	s_add_nc_u64 s[8:9], s[8:9], 16
	s_mov_b64 s[28:29], 2
	s_mov_b32 s30, 0
.LBB0_6:                                ; =>This Inner Loop Header: Depth=1
	s_load_b64 s[34:35], s[8:9], 0x0
                                        ; implicit-def: $sgpr38_sgpr39
	s_wait_kmcnt 0x0
	s_or_b64 s[36:37], s[24:25], s[34:35]
	s_delay_alu instid0(SALU_CYCLE_1)
	s_mov_b32 s31, s37
	s_mov_b32 s37, -1
	s_wait_alu 0xfffe
	s_cmp_lg_u64 s[30:31], 0
	s_cbranch_scc0 .LBB0_8
; %bb.7:                                ;   in Loop: Header=BB0_6 Depth=1
	s_cvt_f32_u32 s31, s34
	s_cvt_f32_u32 s33, s35
	s_sub_nc_u64 s[40:41], 0, s[34:35]
	s_mov_b32 s37, 0
	s_mov_b32 s45, s30
	s_wait_alu 0xfffe
	s_fmamk_f32 s31, s33, 0x4f800000, s31
	s_wait_alu 0xfffe
	s_delay_alu instid0(SALU_CYCLE_2) | instskip(NEXT) | instid1(TRANS32_DEP_1)
	v_s_rcp_f32 s31, s31
	s_mul_f32 s31, s31, 0x5f7ffffc
	s_wait_alu 0xfffe
	s_delay_alu instid0(SALU_CYCLE_2) | instskip(NEXT) | instid1(SALU_CYCLE_3)
	s_mul_f32 s33, s31, 0x2f800000
	s_trunc_f32 s33, s33
	s_delay_alu instid0(SALU_CYCLE_3) | instskip(SKIP_2) | instid1(SALU_CYCLE_1)
	s_fmamk_f32 s31, s33, 0xcf800000, s31
	s_cvt_u32_f32 s39, s33
	s_wait_alu 0xfffe
	s_cvt_u32_f32 s38, s31
	s_wait_alu 0xfffe
	s_delay_alu instid0(SALU_CYCLE_2)
	s_mul_u64 s[42:43], s[40:41], s[38:39]
	s_wait_alu 0xfffe
	s_mul_hi_u32 s47, s38, s43
	s_mul_i32 s46, s38, s43
	s_mul_hi_u32 s36, s38, s42
	s_mul_i32 s33, s39, s42
	s_add_nc_u64 s[46:47], s[36:37], s[46:47]
	s_mul_hi_u32 s31, s39, s42
	s_mul_hi_u32 s48, s39, s43
	s_add_co_u32 s33, s46, s33
	s_wait_alu 0xfffe
	s_add_co_ci_u32 s44, s47, s31
	s_mul_i32 s42, s39, s43
	s_add_co_ci_u32 s43, s48, 0
	s_wait_alu 0xfffe
	s_add_nc_u64 s[42:43], s[44:45], s[42:43]
	s_wait_alu 0xfffe
	v_add_co_u32 v1, s31, s38, s42
	s_delay_alu instid0(VALU_DEP_1) | instskip(SKIP_1) | instid1(VALU_DEP_1)
	s_cmp_lg_u32 s31, 0
	s_add_co_ci_u32 s39, s39, s43
	v_readfirstlane_b32 s38, v1
	s_mov_b32 s43, s30
	s_wait_alu 0xfffe
	s_delay_alu instid0(VALU_DEP_1)
	s_mul_u64 s[40:41], s[40:41], s[38:39]
	s_wait_alu 0xfffe
	s_mul_hi_u32 s45, s38, s41
	s_mul_i32 s44, s38, s41
	s_mul_hi_u32 s36, s38, s40
	s_mul_i32 s33, s39, s40
	s_add_nc_u64 s[44:45], s[36:37], s[44:45]
	s_mul_hi_u32 s31, s39, s40
	s_mul_hi_u32 s38, s39, s41
	s_add_co_u32 s33, s44, s33
	s_wait_alu 0xfffe
	s_add_co_ci_u32 s42, s45, s31
	s_mul_i32 s40, s39, s41
	s_add_co_ci_u32 s41, s38, 0
	s_wait_alu 0xfffe
	s_add_nc_u64 s[40:41], s[42:43], s[40:41]
	s_wait_alu 0xfffe
	v_add_co_u32 v1, s31, v1, s40
	s_delay_alu instid0(VALU_DEP_1) | instskip(SKIP_1) | instid1(VALU_DEP_1)
	s_cmp_lg_u32 s31, 0
	s_add_co_ci_u32 s31, s39, s41
	v_readfirstlane_b32 s33, v1
	s_wait_alu 0xfffe
	s_mul_hi_u32 s39, s24, s31
	s_mul_i32 s38, s24, s31
	s_mul_hi_u32 s41, s25, s31
	s_mul_i32 s40, s25, s31
	;; [unrolled: 2-line block ×3, first 2 shown]
	s_wait_alu 0xfffe
	s_add_nc_u64 s[38:39], s[36:37], s[38:39]
	s_mul_hi_u32 s33, s25, s33
	s_wait_alu 0xfffe
	s_add_co_u32 s31, s38, s31
	s_add_co_ci_u32 s42, s39, s33
	s_add_co_ci_u32 s41, s41, 0
	s_wait_alu 0xfffe
	s_add_nc_u64 s[38:39], s[42:43], s[40:41]
	s_wait_alu 0xfffe
	s_mul_u64 s[40:41], s[34:35], s[38:39]
	s_add_nc_u64 s[42:43], s[38:39], 1
	s_wait_alu 0xfffe
	v_sub_co_u32 v1, s31, s24, s40
	s_sub_co_i32 s33, s25, s41
	s_cmp_lg_u32 s31, 0
	s_add_nc_u64 s[44:45], s[38:39], 2
	s_delay_alu instid0(VALU_DEP_1) | instskip(SKIP_2) | instid1(VALU_DEP_1)
	v_sub_co_u32 v2, s36, v1, s34
	s_sub_co_ci_u32 s33, s33, s35
	s_cmp_lg_u32 s36, 0
	v_readfirstlane_b32 s36, v2
	s_sub_co_ci_u32 s33, s33, 0
	s_delay_alu instid0(SALU_CYCLE_1) | instskip(SKIP_1) | instid1(VALU_DEP_1)
	s_cmp_ge_u32 s33, s35
	s_cselect_b32 s40, -1, 0
	s_cmp_ge_u32 s36, s34
	s_cselect_b32 s36, -1, 0
	s_cmp_eq_u32 s33, s35
	s_wait_alu 0xfffe
	s_cselect_b32 s33, s36, s40
	s_delay_alu instid0(SALU_CYCLE_1)
	s_cmp_lg_u32 s33, 0
	s_cselect_b32 s33, s44, s42
	s_cselect_b32 s36, s45, s43
	s_cmp_lg_u32 s31, 0
	v_readfirstlane_b32 s31, v1
	s_sub_co_ci_u32 s40, s25, s41
	s_wait_alu 0xfffe
	s_cmp_ge_u32 s40, s35
	s_cselect_b32 s41, -1, 0
	s_cmp_ge_u32 s31, s34
	s_cselect_b32 s31, -1, 0
	s_cmp_eq_u32 s40, s35
	s_wait_alu 0xfffe
	s_cselect_b32 s31, s31, s41
	s_wait_alu 0xfffe
	s_cmp_lg_u32 s31, 0
	s_cselect_b32 s39, s36, s39
	s_cselect_b32 s38, s33, s38
.LBB0_8:                                ;   in Loop: Header=BB0_6 Depth=1
	s_and_not1_b32 vcc_lo, exec_lo, s37
	s_cbranch_vccnz .LBB0_10
; %bb.9:                                ;   in Loop: Header=BB0_6 Depth=1
	v_cvt_f32_u32_e32 v1, s34
	s_sub_co_i32 s33, 0, s34
	s_mov_b32 s39, s30
	s_delay_alu instid0(VALU_DEP_1) | instskip(NEXT) | instid1(TRANS32_DEP_1)
	v_rcp_iflag_f32_e32 v1, v1
	v_mul_f32_e32 v1, 0x4f7ffffe, v1
	s_delay_alu instid0(VALU_DEP_1) | instskip(NEXT) | instid1(VALU_DEP_1)
	v_cvt_u32_f32_e32 v1, v1
	v_readfirstlane_b32 s31, v1
	s_delay_alu instid0(VALU_DEP_1) | instskip(NEXT) | instid1(SALU_CYCLE_1)
	s_mul_i32 s33, s33, s31
	s_mul_hi_u32 s33, s31, s33
	s_delay_alu instid0(SALU_CYCLE_1)
	s_add_co_i32 s31, s31, s33
	s_wait_alu 0xfffe
	s_mul_hi_u32 s31, s24, s31
	s_wait_alu 0xfffe
	s_mul_i32 s33, s31, s34
	s_add_co_i32 s36, s31, 1
	s_sub_co_i32 s33, s24, s33
	s_delay_alu instid0(SALU_CYCLE_1)
	s_sub_co_i32 s37, s33, s34
	s_cmp_ge_u32 s33, s34
	s_cselect_b32 s31, s36, s31
	s_cselect_b32 s33, s37, s33
	s_wait_alu 0xfffe
	s_add_co_i32 s36, s31, 1
	s_cmp_ge_u32 s33, s34
	s_cselect_b32 s38, s36, s31
.LBB0_10:                               ;   in Loop: Header=BB0_6 Depth=1
	s_load_b64 s[36:37], s[26:27], 0x0
	s_add_nc_u64 s[28:29], s[28:29], 1
	s_mul_u64 s[20:21], s[34:35], s[20:21]
	s_wait_alu 0xfffe
	v_cmp_ge_u64_e64 s31, s[28:29], s[6:7]
	s_mul_u64 s[34:35], s[38:39], s[34:35]
	s_add_nc_u64 s[26:27], s[26:27], 8
	s_wait_alu 0xfffe
	s_sub_nc_u64 s[24:25], s[24:25], s[34:35]
	s_add_nc_u64 s[8:9], s[8:9], 8
	s_and_b32 vcc_lo, exec_lo, s31
	s_wait_kmcnt 0x0
	s_wait_alu 0xfffe
	s_mul_u64 s[24:25], s[36:37], s[24:25]
	s_wait_alu 0xfffe
	s_add_nc_u64 s[22:23], s[24:25], s[22:23]
	s_cbranch_vccnz .LBB0_12
; %bb.11:                               ;   in Loop: Header=BB0_6 Depth=1
	s_mov_b64 s[24:25], s[38:39]
	s_branch .LBB0_6
.LBB0_12:
	v_cmp_lt_u64_e64 s8, s[16:17], s[20:21]
	s_mov_b64 s[24:25], 0
	s_delay_alu instid0(VALU_DEP_1)
	s_and_b32 vcc_lo, exec_lo, s8
	s_cbranch_vccnz .LBB0_14
; %bb.13:
	v_cvt_f32_u32_e32 v1, s20
	s_sub_co_i32 s9, 0, s20
	s_mov_b32 s25, 0
	s_delay_alu instid0(VALU_DEP_1) | instskip(NEXT) | instid1(TRANS32_DEP_1)
	v_rcp_iflag_f32_e32 v1, v1
	v_mul_f32_e32 v1, 0x4f7ffffe, v1
	s_delay_alu instid0(VALU_DEP_1) | instskip(NEXT) | instid1(VALU_DEP_1)
	v_cvt_u32_f32_e32 v1, v1
	v_readfirstlane_b32 s8, v1
	s_delay_alu instid0(VALU_DEP_1) | instskip(NEXT) | instid1(SALU_CYCLE_1)
	s_mul_i32 s9, s9, s8
	s_mul_hi_u32 s9, s8, s9
	s_delay_alu instid0(SALU_CYCLE_1) | instskip(NEXT) | instid1(SALU_CYCLE_1)
	s_add_co_i32 s8, s8, s9
	s_mul_hi_u32 s8, s16, s8
	s_delay_alu instid0(SALU_CYCLE_1) | instskip(NEXT) | instid1(SALU_CYCLE_1)
	s_mul_i32 s9, s8, s20
	s_sub_co_i32 s9, s16, s9
	s_add_co_i32 s16, s8, 1
	s_sub_co_i32 s17, s9, s20
	s_cmp_ge_u32 s9, s20
	s_wait_alu 0xfffe
	s_cselect_b32 s8, s16, s8
	s_cselect_b32 s9, s17, s9
	s_add_co_i32 s16, s8, 1
	s_cmp_ge_u32 s9, s20
	s_wait_alu 0xfffe
	s_cselect_b32 s24, s16, s8
.LBB0_14:
	v_mul_hi_u32 v2, 0x55555556, v0
	s_lshl_b64 s[6:7], s[6:7], 3
	s_load_b64 s[0:1], s[0:1], 0x58
	s_add_nc_u64 s[6:7], s[10:11], s[6:7]
	s_load_b64 s[6:7], s[6:7], 0x0
	s_delay_alu instid0(VALU_DEP_1) | instskip(SKIP_1) | instid1(VALU_DEP_2)
	v_mul_u32_u24_e32 v1, 3, v2
	v_add_nc_u32_e32 v3, 0xa2, v2
	v_sub_nc_u32_e32 v7, v0, v1
	v_mov_b32_e32 v1, 0
	s_delay_alu instid0(VALU_DEP_2) | instskip(NEXT) | instid1(VALU_DEP_1)
	v_add_co_u32 v5, s8, s18, v7
	v_add_co_ci_u32_e64 v6, null, s19, 0, s8
	s_add_nc_u64 s[8:9], s[18:19], 3
	v_mul_lo_u32 v4, 0xf30, v7
	s_wait_alu 0xfffe
	v_cmp_le_u64_e64 s8, s[8:9], s[4:5]
	v_cmp_gt_u64_e32 vcc_lo, s[4:5], v[5:6]
	v_add_nc_u32_e32 v6, 0x51, v2
	v_lshlrev_b32_e32 v5, 4, v2
	s_wait_kmcnt 0x0
	s_mul_u64 s[4:5], s[6:7], s[24:25]
	s_wait_alu 0xfffe
	s_add_nc_u64 s[4:5], s[4:5], s[22:23]
	s_or_b32 s10, s8, vcc_lo
	s_delay_alu instid0(SALU_CYCLE_1)
	s_and_saveexec_b32 s6, s10
	s_cbranch_execz .LBB0_16
; %bb.15:
	v_mad_co_u64_u32 v[8:9], null, s14, v7, 0
	v_mad_co_u64_u32 v[10:11], null, s12, v2, 0
	;; [unrolled: 1-line block ×4, first 2 shown]
	s_wait_alu 0xfffe
	s_lshl_b64 s[8:9], s[4:5], 4
	s_delay_alu instid0(VALU_DEP_3) | instskip(NEXT) | instid1(VALU_DEP_3)
	v_mad_co_u64_u32 v[16:17], null, s15, v7, v[9:10]
	v_mad_co_u64_u32 v[17:18], null, s13, v2, v[11:12]
	s_delay_alu instid0(VALU_DEP_3) | instskip(SKIP_2) | instid1(VALU_DEP_3)
	v_mad_co_u64_u32 v[18:19], null, s13, v6, v[13:14]
	s_wait_alu 0xfffe
	s_add_nc_u64 s[8:9], s[0:1], s[8:9]
	v_mov_b32_e32 v9, v16
	v_mad_co_u64_u32 v[19:20], null, s13, v3, v[15:16]
	s_delay_alu instid0(VALU_DEP_4) | instskip(NEXT) | instid1(VALU_DEP_4)
	v_mov_b32_e32 v11, v17
	v_mov_b32_e32 v13, v18
	s_delay_alu instid0(VALU_DEP_4) | instskip(SKIP_1) | instid1(VALU_DEP_4)
	v_lshlrev_b64_e32 v[8:9], 4, v[8:9]
	v_add3_u32 v20, 0, v4, v5
	v_lshlrev_b64_e32 v[10:11], 4, v[10:11]
	v_mov_b32_e32 v15, v19
	v_lshlrev_b64_e32 v[12:13], 4, v[12:13]
	s_wait_alu 0xfffe
	v_add_co_u32 v16, vcc_lo, s8, v8
	v_add_co_ci_u32_e32 v17, vcc_lo, s9, v9, vcc_lo
	v_lshlrev_b64_e32 v[8:9], 4, v[14:15]
	s_delay_alu instid0(VALU_DEP_3) | instskip(SKIP_1) | instid1(VALU_DEP_3)
	v_add_co_u32 v10, vcc_lo, v16, v10
	s_wait_alu 0xfffd
	v_add_co_ci_u32_e32 v11, vcc_lo, v17, v11, vcc_lo
	v_add_co_u32 v12, vcc_lo, v16, v12
	s_wait_alu 0xfffd
	v_add_co_ci_u32_e32 v13, vcc_lo, v17, v13, vcc_lo
	;; [unrolled: 3-line block ×3, first 2 shown]
	s_clause 0x2
	global_load_b128 v[8:11], v[10:11], off
	global_load_b128 v[12:15], v[12:13], off
	;; [unrolled: 1-line block ×3, first 2 shown]
	s_wait_loadcnt 0x2
	ds_store_b128 v20, v[8:11]
	s_wait_loadcnt 0x1
	ds_store_b128 v20, v[12:15] offset:1296
	s_wait_loadcnt 0x0
	ds_store_b128 v20, v[16:19] offset:2592
.LBB0_16:
	s_wait_alu 0xfffe
	s_or_b32 exec_lo, exec_lo, s6
	s_mov_b32 s6, 0
	s_mov_b32 s8, 0x55500000
	s_movk_i32 s9, 0x155
	s_wait_alu 0xfffe
	s_mov_b32 s7, s6
	s_mov_b32 s23, s6
	s_wait_alu 0xfffe
	s_add_nc_u64 s[8:9], s[6:7], s[8:9]
	v_mul_hi_u32 v13, 0x3291620, v0
	s_wait_alu 0xfffe
	s_add_co_i32 s9, s9, 0x55555400
	global_wb scope:SCOPE_SE
	s_wait_dscnt 0x0
	s_wait_alu 0xfffe
	s_mul_u64 s[16:17], s[8:9], -3
	s_barrier_signal -1
	s_wait_alu 0xfffe
	s_mul_hi_u32 s21, s8, s17
	s_mul_i32 s20, s8, s17
	s_mul_hi_u32 s22, s8, s16
	s_mul_i32 s11, s9, s16
	s_wait_alu 0xfffe
	s_add_nc_u64 s[20:21], s[22:23], s[20:21]
	s_mul_hi_u32 s7, s9, s16
	s_mul_hi_u32 s22, s9, s17
	s_wait_alu 0xfffe
	s_add_co_u32 s11, s20, s11
	s_add_co_ci_u32 s16, s21, s7
	s_add_co_ci_u32 s21, s22, 0
	s_mul_i32 s20, s9, s17
	s_mov_b32 s17, s6
	s_barrier_wait -1
	s_wait_alu 0xfffe
	s_add_nc_u64 s[6:7], s[16:17], s[20:21]
	global_inv scope:SCOPE_SE
	s_wait_alu 0xfffe
	v_add_co_u32 v11, s6, s8, s6
	s_delay_alu instid0(VALU_DEP_1) | instskip(SKIP_4) | instid1(VALU_DEP_2)
	s_cmp_lg_u32 s6, 0
	v_add_co_u32 v10, s6, s18, v13
	s_wait_alu 0xf1ff
	v_add_co_ci_u32_e64 v14, null, s19, 0, s6
	s_add_co_ci_u32 s6, s9, s7
	v_mul_hi_u32 v15, v10, v11
	s_wait_alu 0xfffe
	v_mad_co_u64_u32 v[8:9], null, v10, s6, 0
	v_mad_co_u64_u32 v[11:12], null, v14, v11, 0
	s_mov_b32 s9, 0x3febb67a
	s_delay_alu instid0(VALU_DEP_2) | instskip(SKIP_1) | instid1(VALU_DEP_3)
	v_add_co_u32 v15, vcc_lo, v15, v8
	s_wait_alu 0xfffd
	v_add_co_ci_u32_e32 v16, vcc_lo, 0, v9, vcc_lo
	v_mad_co_u64_u32 v[8:9], null, v14, s6, 0
	s_delay_alu instid0(VALU_DEP_3) | instskip(SKIP_1) | instid1(VALU_DEP_3)
	v_add_co_u32 v11, vcc_lo, v15, v11
	s_wait_alu 0xfffd
	v_add_co_ci_u32_e32 v11, vcc_lo, v16, v12, vcc_lo
	s_mov_b32 s6, 0xe8584caa
	s_mov_b32 s7, 0xbfebb67a
	s_wait_alu 0xfffd
	s_delay_alu instid0(VALU_DEP_3)
	v_add_co_ci_u32_e32 v9, vcc_lo, 0, v9, vcc_lo
	v_add_co_u32 v8, vcc_lo, v11, v8
	s_wait_alu 0xfffe
	s_mov_b32 s8, s6
	s_wait_alu 0xfffd
	v_add_co_ci_u32_e32 v11, vcc_lo, 0, v9, vcc_lo
	v_mad_co_u64_u32 v[8:9], null, v8, 3, 0
	s_delay_alu instid0(VALU_DEP_1) | instskip(NEXT) | instid1(VALU_DEP_2)
	v_mad_co_u64_u32 v[11:12], null, v11, 3, v[9:10]
	v_sub_co_u32 v8, vcc_lo, v10, v8
	s_wait_alu 0xfffd
	s_delay_alu instid0(VALU_DEP_2) | instskip(NEXT) | instid1(VALU_DEP_2)
	v_sub_co_ci_u32_e32 v9, vcc_lo, v14, v11, vcc_lo
	v_sub_co_u32 v11, vcc_lo, v8, 3
	s_wait_alu 0xfffd
	s_delay_alu instid0(VALU_DEP_2) | instskip(NEXT) | instid1(VALU_DEP_2)
	v_subrev_co_ci_u32_e32 v12, vcc_lo, 0, v9, vcc_lo
	v_cmp_lt_u32_e32 vcc_lo, 2, v11
	s_wait_alu 0xfffd
	v_cndmask_b32_e64 v14, 0, -1, vcc_lo
	v_cmp_lt_u32_e32 vcc_lo, 2, v8
	s_wait_alu 0xfffd
	v_cndmask_b32_e64 v15, 0, -1, vcc_lo
	v_cmp_eq_u32_e32 vcc_lo, 0, v12
	s_wait_alu 0xfffd
	v_cndmask_b32_e32 v12, -1, v14, vcc_lo
	v_cmp_eq_u32_e32 vcc_lo, 0, v9
	v_add_nc_u32_e32 v14, -3, v11
	s_wait_alu 0xfffd
	v_cndmask_b32_e32 v9, -1, v15, vcc_lo
	v_cmp_ne_u32_e32 vcc_lo, 0, v12
	v_mul_u32_u24_e32 v12, 0x51, v13
	s_wait_alu 0xfffd
	v_cndmask_b32_e32 v11, v11, v14, vcc_lo
	v_cmp_ne_u32_e32 vcc_lo, 0, v9
	s_wait_alu 0xfffd
	s_delay_alu instid0(VALU_DEP_2) | instskip(SKIP_1) | instid1(VALU_DEP_2)
	v_cndmask_b32_e32 v8, v8, v11, vcc_lo
	v_sub_nc_u32_e32 v11, v0, v12
	v_mul_u32_u24_e32 v0, 0xf3, v8
	s_delay_alu instid0(VALU_DEP_2) | instskip(SKIP_1) | instid1(VALU_DEP_3)
	v_lshlrev_b32_e32 v9, 4, v11
	v_mul_lo_u32 v62, v11, v10
	v_lshlrev_b32_e32 v12, 4, v0
	v_and_b32_e32 v0, 0xff, v11
	s_delay_alu instid0(VALU_DEP_2)
	v_add3_u32 v8, 0, v9, v12
	ds_load_b128 v[13:16], v8 offset:1296
	ds_load_b128 v[17:20], v8 offset:2592
	v_add3_u32 v9, 0, v12, v9
	ds_load_b128 v[21:24], v9
	global_wb scope:SCOPE_SE
	s_wait_dscnt 0x0
	s_barrier_signal -1
	s_barrier_wait -1
	global_inv scope:SCOPE_SE
	v_add_f64_e32 v[25:26], v[13:14], v[17:18]
	v_add_f64_e32 v[27:28], v[15:16], v[19:20]
	v_add_f64_e64 v[31:32], v[15:16], -v[19:20]
	v_add_f64_e32 v[29:30], v[21:22], v[13:14]
	v_add_f64_e32 v[15:16], v[23:24], v[15:16]
	v_fma_f64 v[21:22], v[25:26], -0.5, v[21:22]
	v_add_f64_e64 v[25:26], v[13:14], -v[17:18]
	v_fma_f64 v[23:24], v[27:28], -0.5, v[23:24]
	v_add_f64_e32 v[13:14], v[29:30], v[17:18]
	v_add_f64_e32 v[15:16], v[15:16], v[19:20]
	v_fma_f64 v[17:18], v[31:32], s[6:7], v[21:22]
	s_wait_alu 0xfffe
	v_fma_f64 v[21:22], v[31:32], s[8:9], v[21:22]
	v_fma_f64 v[19:20], v[25:26], s[8:9], v[23:24]
	;; [unrolled: 1-line block ×3, first 2 shown]
	v_mul_lo_u16 v25, 0xab, v0
	v_lshl_add_u32 v26, v11, 5, v8
	ds_store_b128 v26, v[13:16]
	ds_store_b128 v26, v[17:20] offset:16
	ds_store_b128 v26, v[21:24] offset:32
	v_lshrrev_b16 v35, 9, v25
	global_wb scope:SCOPE_SE
	s_wait_dscnt 0x0
	s_barrier_signal -1
	s_barrier_wait -1
	global_inv scope:SCOPE_SE
	v_mul_lo_u16 v25, v35, 3
	s_delay_alu instid0(VALU_DEP_1) | instskip(NEXT) | instid1(VALU_DEP_1)
	v_sub_nc_u16 v25, v11, v25
	v_and_b32_e32 v36, 0xff, v25
	s_delay_alu instid0(VALU_DEP_1)
	v_lshlrev_b32_e32 v25, 5, v36
	s_clause 0x1
	global_load_b128 v[13:16], v25, s[2:3]
	global_load_b128 v[17:20], v25, s[2:3] offset:16
	ds_load_b128 v[21:24], v8 offset:1296
	ds_load_b128 v[25:28], v8 offset:2592
	s_wait_loadcnt_dscnt 0x101
	v_mul_f64_e32 v[29:30], v[23:24], v[15:16]
	s_wait_loadcnt_dscnt 0x0
	v_mul_f64_e32 v[31:32], v[27:28], v[19:20]
	v_mul_f64_e32 v[15:16], v[21:22], v[15:16]
	;; [unrolled: 1-line block ×3, first 2 shown]
	s_delay_alu instid0(VALU_DEP_4) | instskip(NEXT) | instid1(VALU_DEP_4)
	v_fma_f64 v[21:22], v[21:22], v[13:14], v[29:30]
	v_fma_f64 v[25:26], v[25:26], v[17:18], v[31:32]
	s_delay_alu instid0(VALU_DEP_4) | instskip(NEXT) | instid1(VALU_DEP_4)
	v_fma_f64 v[23:24], v[23:24], v[13:14], -v[15:16]
	v_fma_f64 v[17:18], v[27:28], v[17:18], -v[19:20]
	ds_load_b128 v[13:16], v9
	global_wb scope:SCOPE_SE
	s_wait_dscnt 0x0
	s_barrier_signal -1
	s_barrier_wait -1
	global_inv scope:SCOPE_SE
	v_add_f64_e32 v[29:30], v[13:14], v[21:22]
	v_add_f64_e32 v[19:20], v[21:22], v[25:26]
	v_add_f64_e64 v[33:34], v[21:22], -v[25:26]
	v_add_f64_e32 v[27:28], v[23:24], v[17:18]
	v_add_f64_e64 v[31:32], v[23:24], -v[17:18]
	v_add_f64_e32 v[23:24], v[15:16], v[23:24]
	v_fma_f64 v[19:20], v[19:20], -0.5, v[13:14]
	v_add_f64_e32 v[13:14], v[29:30], v[25:26]
	v_fma_f64 v[27:28], v[27:28], -0.5, v[15:16]
	v_mul_lo_u16 v25, v0, 57
	v_add_f64_e32 v[15:16], v[23:24], v[17:18]
	v_and_b32_e32 v26, 0xffff, v35
	v_mul_lo_u16 v0, v0, 19
	s_delay_alu instid0(VALU_DEP_4) | instskip(NEXT) | instid1(VALU_DEP_3)
	v_lshrrev_b16 v37, 9, v25
	v_mad_u32_u24 v26, 0x90, v26, 0
	s_delay_alu instid0(VALU_DEP_2) | instskip(NEXT) | instid1(VALU_DEP_1)
	v_mul_lo_u16 v25, v37, 9
	v_sub_nc_u16 v25, v11, v25
	s_delay_alu instid0(VALU_DEP_1) | instskip(SKIP_2) | instid1(VALU_DEP_2)
	v_and_b32_e32 v35, 0xff, v25
	v_lshlrev_b32_e32 v25, 4, v36
	v_lshrrev_b16 v36, 9, v0
	v_add3_u32 v25, v26, v25, v12
	s_delay_alu instid0(VALU_DEP_2) | instskip(NEXT) | instid1(VALU_DEP_1)
	v_mul_lo_u16 v0, v36, 27
	v_sub_nc_u16 v0, v11, v0
	v_fma_f64 v[17:18], v[31:32], s[6:7], v[19:20]
	v_fma_f64 v[21:22], v[31:32], s[8:9], v[19:20]
	;; [unrolled: 1-line block ×4, first 2 shown]
	v_lshlrev_b32_e32 v27, 5, v35
	ds_store_b128 v25, v[13:16]
	ds_store_b128 v25, v[17:20] offset:48
	ds_store_b128 v25, v[21:24] offset:96
	global_wb scope:SCOPE_SE
	s_wait_dscnt 0x0
	s_barrier_signal -1
	s_barrier_wait -1
	global_inv scope:SCOPE_SE
	s_clause 0x1
	global_load_b128 v[13:16], v27, s[2:3] offset:96
	global_load_b128 v[17:20], v27, s[2:3] offset:112
	ds_load_b128 v[21:24], v8 offset:1296
	ds_load_b128 v[25:28], v8 offset:2592
	s_wait_loadcnt_dscnt 0x101
	v_mul_f64_e32 v[29:30], v[23:24], v[15:16]
	s_wait_loadcnt_dscnt 0x0
	v_mul_f64_e32 v[31:32], v[27:28], v[19:20]
	v_mul_f64_e32 v[15:16], v[21:22], v[15:16]
	;; [unrolled: 1-line block ×3, first 2 shown]
	s_delay_alu instid0(VALU_DEP_4) | instskip(NEXT) | instid1(VALU_DEP_4)
	v_fma_f64 v[21:22], v[21:22], v[13:14], v[29:30]
	v_fma_f64 v[25:26], v[25:26], v[17:18], v[31:32]
	s_delay_alu instid0(VALU_DEP_4) | instskip(NEXT) | instid1(VALU_DEP_4)
	v_fma_f64 v[23:24], v[23:24], v[13:14], -v[15:16]
	v_fma_f64 v[17:18], v[27:28], v[17:18], -v[19:20]
	ds_load_b128 v[13:16], v9
	global_wb scope:SCOPE_SE
	s_wait_dscnt 0x0
	s_barrier_signal -1
	s_barrier_wait -1
	global_inv scope:SCOPE_SE
	v_add_f64_e32 v[29:30], v[13:14], v[21:22]
	v_add_f64_e32 v[19:20], v[21:22], v[25:26]
	v_add_f64_e64 v[33:34], v[21:22], -v[25:26]
	v_add_f64_e32 v[27:28], v[23:24], v[17:18]
	v_add_f64_e64 v[31:32], v[23:24], -v[17:18]
	v_add_f64_e32 v[23:24], v[15:16], v[23:24]
	v_fma_f64 v[19:20], v[19:20], -0.5, v[13:14]
	v_add_f64_e32 v[13:14], v[29:30], v[25:26]
	v_fma_f64 v[27:28], v[27:28], -0.5, v[15:16]
	v_and_b32_e32 v25, 0xffff, v37
	v_add_f64_e32 v[15:16], v[23:24], v[17:18]
	v_and_b32_e32 v37, 0xff, v0
	v_lshlrev_b32_e32 v0, 4, v35
	s_delay_alu instid0(VALU_DEP_4) | instskip(NEXT) | instid1(VALU_DEP_3)
	v_mad_u32_u24 v25, 0x1b0, v25, 0
	v_lshlrev_b32_e32 v26, 5, v37
	s_delay_alu instid0(VALU_DEP_2)
	v_add3_u32 v0, v25, v0, v12
	v_fma_f64 v[17:18], v[31:32], s[6:7], v[19:20]
	v_fma_f64 v[21:22], v[31:32], s[8:9], v[19:20]
	;; [unrolled: 1-line block ×4, first 2 shown]
	ds_store_b128 v0, v[13:16]
	ds_store_b128 v0, v[17:20] offset:144
	ds_store_b128 v0, v[21:24] offset:288
	global_wb scope:SCOPE_SE
	s_wait_dscnt 0x0
	s_barrier_signal -1
	s_barrier_wait -1
	global_inv scope:SCOPE_SE
	s_clause 0x1
	global_load_b128 v[13:16], v26, s[2:3] offset:384
	global_load_b128 v[17:20], v26, s[2:3] offset:400
	ds_load_b128 v[21:24], v8 offset:1296
	ds_load_b128 v[25:28], v8 offset:2592
	v_lshlrev_b32_e32 v0, 1, v11
	s_delay_alu instid0(VALU_DEP_1) | instskip(NEXT) | instid1(VALU_DEP_1)
	v_lshlrev_b64_e32 v[0:1], 4, v[0:1]
	v_add_co_u32 v0, vcc_lo, s2, v0
	s_wait_alu 0xfffd
	s_delay_alu instid0(VALU_DEP_2)
	v_add_co_ci_u32_e32 v1, vcc_lo, s3, v1, vcc_lo
	s_add_co_i32 s2, 0, 0x2d90
	s_wait_loadcnt_dscnt 0x101
	v_mul_f64_e32 v[29:30], v[23:24], v[15:16]
	s_wait_loadcnt_dscnt 0x0
	v_mul_f64_e32 v[31:32], v[27:28], v[19:20]
	v_mul_f64_e32 v[15:16], v[21:22], v[15:16]
	;; [unrolled: 1-line block ×3, first 2 shown]
	s_delay_alu instid0(VALU_DEP_4) | instskip(NEXT) | instid1(VALU_DEP_4)
	v_fma_f64 v[21:22], v[21:22], v[13:14], v[29:30]
	v_fma_f64 v[25:26], v[25:26], v[17:18], v[31:32]
	s_delay_alu instid0(VALU_DEP_4) | instskip(NEXT) | instid1(VALU_DEP_4)
	v_fma_f64 v[23:24], v[23:24], v[13:14], -v[15:16]
	v_fma_f64 v[17:18], v[27:28], v[17:18], -v[19:20]
	ds_load_b128 v[13:16], v9
	global_wb scope:SCOPE_SE
	s_wait_dscnt 0x0
	s_barrier_signal -1
	s_barrier_wait -1
	global_inv scope:SCOPE_SE
	v_add_f64_e32 v[29:30], v[13:14], v[21:22]
	v_add_f64_e32 v[19:20], v[21:22], v[25:26]
	v_add_f64_e64 v[33:34], v[21:22], -v[25:26]
	v_add_f64_e32 v[27:28], v[23:24], v[17:18]
	v_add_f64_e64 v[31:32], v[23:24], -v[17:18]
	v_add_f64_e32 v[23:24], v[15:16], v[23:24]
	v_fma_f64 v[19:20], v[19:20], -0.5, v[13:14]
	v_add_f64_e32 v[13:14], v[29:30], v[25:26]
	v_fma_f64 v[27:28], v[27:28], -0.5, v[15:16]
	v_and_b32_e32 v25, 0xffff, v36
	v_add_f64_e32 v[15:16], v[23:24], v[17:18]
	v_lshlrev_b32_e32 v26, 4, v37
	s_delay_alu instid0(VALU_DEP_3) | instskip(NEXT) | instid1(VALU_DEP_1)
	v_mad_u32_u24 v25, 0x510, v25, 0
	v_add3_u32 v12, v25, v26, v12
	v_fma_f64 v[17:18], v[31:32], s[6:7], v[19:20]
	v_fma_f64 v[21:22], v[31:32], s[8:9], v[19:20]
	;; [unrolled: 1-line block ×4, first 2 shown]
	ds_store_b128 v12, v[13:16]
	ds_store_b128 v12, v[17:20] offset:432
	ds_store_b128 v12, v[21:24] offset:864
	global_wb scope:SCOPE_SE
	s_wait_dscnt 0x0
	s_barrier_signal -1
	s_barrier_wait -1
	global_inv scope:SCOPE_SE
	s_clause 0x1
	global_load_b128 v[12:15], v[0:1], off offset:1248
	global_load_b128 v[16:19], v[0:1], off offset:1264
	ds_load_b128 v[20:23], v8 offset:1296
	ds_load_b128 v[24:27], v8 offset:2592
	v_mul_lo_u32 v0, 0x51, v10
	v_and_b32_e32 v1, 63, v62
	v_lshrrev_b32_e32 v10, 2, v62
	s_delay_alu instid0(VALU_DEP_2) | instskip(NEXT) | instid1(VALU_DEP_2)
	v_lshl_add_u32 v28, v1, 4, 0
	v_and_b32_e32 v29, 0x3f0, v10
	v_add_nc_u32_e32 v52, v62, v0
	s_wait_alu 0xfffe
	s_delay_alu instid0(VALU_DEP_2) | instskip(NEXT) | instid1(VALU_DEP_2)
	v_add_nc_u32_e32 v34, s2, v29
	v_lshrrev_b32_e32 v11, 2, v52
	v_add_nc_u32_e32 v63, v52, v0
	v_and_b32_e32 v30, 63, v52
	v_lshrrev_b32_e32 v52, 8, v52
	s_delay_alu instid0(VALU_DEP_4) | instskip(NEXT) | instid1(VALU_DEP_4)
	v_and_b32_e32 v31, 0x3f0, v11
	v_lshrrev_b32_e32 v33, 2, v63
	v_and_b32_e32 v32, 63, v63
	v_lshl_add_u32 v36, v30, 4, 0
	v_and_b32_e32 v52, 0x3f0, v52
	v_add_nc_u32_e32 v40, s2, v31
	v_and_b32_e32 v33, 0x3f0, v33
	v_lshl_add_u32 v44, v32, 4, 0
	s_delay_alu instid0(VALU_DEP_4) | instskip(NEXT) | instid1(VALU_DEP_3)
	v_add_nc_u32_e32 v52, s2, v52
	v_add_nc_u32_e32 v48, s2, v33
	ds_load_b128 v[28:31], v28 offset:11664
	ds_load_b128 v[32:35], v34 offset:1024
	;; [unrolled: 1-line block ×7, first 2 shown]
	s_wait_dscnt 0x5
	v_mul_f64_e32 v[56:57], v[30:31], v[34:35]
	v_mul_f64_e32 v[34:35], v[28:29], v[34:35]
	s_wait_dscnt 0x3
	v_mul_f64_e32 v[58:59], v[38:39], v[42:43]
	v_mul_f64_e32 v[42:43], v[36:37], v[42:43]
	;; [unrolled: 3-line block ×3, first 2 shown]
	v_fma_f64 v[28:29], v[28:29], v[32:33], -v[56:57]
	v_fma_f64 v[30:31], v[30:31], v[32:33], v[34:35]
	v_fma_f64 v[36:37], v[36:37], v[40:41], -v[58:59]
	v_fma_f64 v[32:33], v[38:39], v[40:41], v[42:43]
	v_fma_f64 v[44:45], v[44:45], v[48:49], -v[60:61]
	v_fma_f64 v[34:35], v[46:47], v[48:49], v[50:51]
	s_wait_dscnt 0x0
	s_delay_alu instid0(VALU_DEP_4) | instskip(NEXT) | instid1(VALU_DEP_4)
	v_mul_f64_e32 v[40:41], v[36:37], v[54:55]
	v_mul_f64_e32 v[50:51], v[32:33], v[54:55]
	s_delay_alu instid0(VALU_DEP_2)
	v_fma_f64 v[32:33], v[52:53], v[32:33], v[40:41]
	s_wait_loadcnt 0x1
	v_mul_f64_e32 v[0:1], v[22:23], v[14:15]
	v_mul_f64_e32 v[10:11], v[20:21], v[14:15]
	s_wait_loadcnt 0x0
	v_mul_f64_e32 v[14:15], v[24:25], v[18:19]
	v_mul_f64_e32 v[18:19], v[26:27], v[18:19]
	s_delay_alu instid0(VALU_DEP_4) | instskip(NEXT) | instid1(VALU_DEP_4)
	v_fma_f64 v[0:1], v[20:21], v[12:13], v[0:1]
	v_fma_f64 v[22:23], v[22:23], v[12:13], -v[10:11]
	s_delay_alu instid0(VALU_DEP_4) | instskip(NEXT) | instid1(VALU_DEP_4)
	v_fma_f64 v[26:27], v[26:27], v[16:17], -v[14:15]
	v_fma_f64 v[24:25], v[24:25], v[16:17], v[18:19]
	v_lshrrev_b32_e32 v10, 8, v62
	v_lshrrev_b32_e32 v11, 8, v63
	s_delay_alu instid0(VALU_DEP_2) | instskip(NEXT) | instid1(VALU_DEP_2)
	v_and_b32_e32 v10, 0x3f0, v10
	v_and_b32_e32 v11, 0x3f0, v11
	s_delay_alu instid0(VALU_DEP_2) | instskip(NEXT) | instid1(VALU_DEP_2)
	v_add_nc_u32_e32 v10, s2, v10
	v_add_nc_u32_e32 v14, s2, v11
	ds_load_b128 v[10:13], v10 offset:2048
	ds_load_b128 v[14:17], v14 offset:2048
	ds_load_b128 v[18:21], v9
	global_wb scope:SCOPE_SE
	s_wait_dscnt 0x0
	s_barrier_signal -1
	s_barrier_wait -1
	global_inv scope:SCOPE_SE
	v_mul_f64_e32 v[38:39], v[28:29], v[12:13]
	v_mul_f64_e32 v[42:43], v[44:45], v[16:17]
	v_add_f64_e32 v[46:47], v[18:19], v[0:1]
	v_add_f64_e32 v[56:57], v[22:23], v[26:27]
	;; [unrolled: 1-line block ×3, first 2 shown]
	v_add_f64_e64 v[48:49], v[22:23], -v[26:27]
	v_add_f64_e32 v[22:23], v[20:21], v[22:23]
	v_add_f64_e64 v[0:1], v[0:1], -v[24:25]
	v_mul_f64_e32 v[12:13], v[30:31], v[12:13]
	v_mul_f64_e32 v[16:17], v[34:35], v[16:17]
	v_fma_f64 v[30:31], v[10:11], v[30:31], v[38:39]
	v_fma_f64 v[34:35], v[14:15], v[34:35], v[42:43]
	v_add_f64_e32 v[24:25], v[46:47], v[24:25]
	v_fma_f64 v[20:21], v[56:57], -0.5, v[20:21]
	v_fma_f64 v[18:19], v[58:59], -0.5, v[18:19]
	v_add_f64_e32 v[22:23], v[22:23], v[26:27]
	v_fma_f64 v[11:12], v[10:11], v[28:29], -v[12:13]
	v_fma_f64 v[28:29], v[14:15], v[44:45], -v[16:17]
	v_mul_f64_e32 v[13:14], v[24:25], v[30:31]
	v_fma_f64 v[26:27], v[0:1], s[8:9], v[20:21]
	v_fma_f64 v[38:39], v[48:49], s[6:7], v[18:19]
	;; [unrolled: 1-line block ×4, first 2 shown]
	v_mul_f64_e32 v[9:10], v[22:23], v[30:31]
	v_fma_f64 v[20:21], v[52:53], v[36:37], -v[50:51]
	v_mul_f64_e32 v[15:16], v[26:27], v[32:33]
	v_mul_f64_e32 v[30:31], v[38:39], v[32:33]
	;; [unrolled: 1-line block ×4, first 2 shown]
	v_fma_f64 v[9:10], v[24:25], v[11:12], v[9:10]
	v_fma_f64 v[11:12], v[22:23], v[11:12], -v[13:14]
	v_fma_f64 v[13:14], v[38:39], v[20:21], v[15:16]
	v_fma_f64 v[15:16], v[26:27], v[20:21], -v[30:31]
	;; [unrolled: 2-line block ×3, first 2 shown]
	ds_store_b128 v8, v[9:12]
	ds_store_b128 v8, v[13:16] offset:1296
	ds_store_b128 v8, v[17:20] offset:2592
	global_wb scope:SCOPE_SE
	s_wait_dscnt 0x0
	s_barrier_signal -1
	s_barrier_wait -1
	global_inv scope:SCOPE_SE
	s_and_saveexec_b32 s2, s10
	s_cbranch_execz .LBB0_18
; %bb.17:
	v_mad_co_u64_u32 v[0:1], null, s14, v7, 0
	v_mad_co_u64_u32 v[12:13], null, s12, v6, 0
	v_mad_co_u64_u32 v[8:9], null, s12, v2, 0
	v_mad_co_u64_u32 v[14:15], null, s12, v3, 0
	s_delay_alu instid0(VALU_DEP_4) | instskip(NEXT) | instid1(VALU_DEP_4)
	v_mad_co_u64_u32 v[10:11], null, s15, v7, v[1:2]
	v_mov_b32_e32 v1, v13
	v_add3_u32 v11, 0, v4, v5
	s_lshl_b64 s[2:3], s[4:5], 4
	s_wait_alu 0xfffe
	s_add_nc_u64 s[0:1], s[0:1], s[2:3]
	v_mad_co_u64_u32 v[4:5], null, s13, v6, v[1:2]
	s_delay_alu instid0(VALU_DEP_4) | instskip(SKIP_1) | instid1(VALU_DEP_3)
	v_mad_co_u64_u32 v[16:17], null, s13, v2, v[9:10]
	v_dual_mov_b32 v2, v15 :: v_dual_mov_b32 v1, v10
	v_mov_b32_e32 v13, v4
	s_delay_alu instid0(VALU_DEP_2) | instskip(NEXT) | instid1(VALU_DEP_4)
	v_lshlrev_b64_e32 v[0:1], 4, v[0:1]
	v_mov_b32_e32 v9, v16
	s_delay_alu instid0(VALU_DEP_4) | instskip(NEXT) | instid1(VALU_DEP_4)
	v_mad_co_u64_u32 v[15:16], null, s13, v3, v[2:3]
	v_lshlrev_b64_e32 v[12:13], 4, v[12:13]
	s_delay_alu instid0(VALU_DEP_4) | instskip(NEXT) | instid1(VALU_DEP_4)
	v_add_co_u32 v18, vcc_lo, s0, v0
	v_lshlrev_b64_e32 v[16:17], 4, v[8:9]
	s_wait_alu 0xfffd
	v_add_co_ci_u32_e32 v19, vcc_lo, s1, v1, vcc_lo
	ds_load_b128 v[0:3], v11
	ds_load_b128 v[4:7], v11 offset:1296
	ds_load_b128 v[8:11], v11 offset:2592
	v_lshlrev_b64_e32 v[14:15], 4, v[14:15]
	v_add_co_u32 v16, vcc_lo, v18, v16
	s_wait_alu 0xfffd
	v_add_co_ci_u32_e32 v17, vcc_lo, v19, v17, vcc_lo
	v_add_co_u32 v12, vcc_lo, v18, v12
	s_wait_alu 0xfffd
	v_add_co_ci_u32_e32 v13, vcc_lo, v19, v13, vcc_lo
	;; [unrolled: 3-line block ×3, first 2 shown]
	s_wait_dscnt 0x2
	global_store_b128 v[16:17], v[0:3], off
	s_wait_dscnt 0x1
	global_store_b128 v[12:13], v[4:7], off
	;; [unrolled: 2-line block ×3, first 2 shown]
.LBB0_18:
	s_nop 0
	s_sendmsg sendmsg(MSG_DEALLOC_VGPRS)
	s_endpgm
	.section	.rodata,"a",@progbits
	.p2align	6, 0x0
	.amdhsa_kernel fft_rtc_back_len243_factors_3_3_3_3_3_wgs_243_tpt_81_dp_ip_CI_sbcc_twdbase6_3step
		.amdhsa_group_segment_fixed_size 0
		.amdhsa_private_segment_fixed_size 0
		.amdhsa_kernarg_size 96
		.amdhsa_user_sgpr_count 2
		.amdhsa_user_sgpr_dispatch_ptr 0
		.amdhsa_user_sgpr_queue_ptr 0
		.amdhsa_user_sgpr_kernarg_segment_ptr 1
		.amdhsa_user_sgpr_dispatch_id 0
		.amdhsa_user_sgpr_private_segment_size 0
		.amdhsa_wavefront_size32 1
		.amdhsa_uses_dynamic_stack 0
		.amdhsa_enable_private_segment 0
		.amdhsa_system_sgpr_workgroup_id_x 1
		.amdhsa_system_sgpr_workgroup_id_y 0
		.amdhsa_system_sgpr_workgroup_id_z 0
		.amdhsa_system_sgpr_workgroup_info 0
		.amdhsa_system_vgpr_workitem_id 0
		.amdhsa_next_free_vgpr 64
		.amdhsa_next_free_sgpr 49
		.amdhsa_reserve_vcc 1
		.amdhsa_float_round_mode_32 0
		.amdhsa_float_round_mode_16_64 0
		.amdhsa_float_denorm_mode_32 3
		.amdhsa_float_denorm_mode_16_64 3
		.amdhsa_fp16_overflow 0
		.amdhsa_workgroup_processor_mode 1
		.amdhsa_memory_ordered 1
		.amdhsa_forward_progress 0
		.amdhsa_round_robin_scheduling 0
		.amdhsa_exception_fp_ieee_invalid_op 0
		.amdhsa_exception_fp_denorm_src 0
		.amdhsa_exception_fp_ieee_div_zero 0
		.amdhsa_exception_fp_ieee_overflow 0
		.amdhsa_exception_fp_ieee_underflow 0
		.amdhsa_exception_fp_ieee_inexact 0
		.amdhsa_exception_int_div_zero 0
	.end_amdhsa_kernel
	.text
.Lfunc_end0:
	.size	fft_rtc_back_len243_factors_3_3_3_3_3_wgs_243_tpt_81_dp_ip_CI_sbcc_twdbase6_3step, .Lfunc_end0-fft_rtc_back_len243_factors_3_3_3_3_3_wgs_243_tpt_81_dp_ip_CI_sbcc_twdbase6_3step
                                        ; -- End function
	.section	.AMDGPU.csdata,"",@progbits
; Kernel info:
; codeLenInByte = 5148
; NumSgprs: 51
; NumVgprs: 64
; ScratchSize: 0
; MemoryBound: 0
; FloatMode: 240
; IeeeMode: 1
; LDSByteSize: 0 bytes/workgroup (compile time only)
; SGPRBlocks: 6
; VGPRBlocks: 7
; NumSGPRsForWavesPerEU: 51
; NumVGPRsForWavesPerEU: 64
; Occupancy: 16
; WaveLimiterHint : 1
; COMPUTE_PGM_RSRC2:SCRATCH_EN: 0
; COMPUTE_PGM_RSRC2:USER_SGPR: 2
; COMPUTE_PGM_RSRC2:TRAP_HANDLER: 0
; COMPUTE_PGM_RSRC2:TGID_X_EN: 1
; COMPUTE_PGM_RSRC2:TGID_Y_EN: 0
; COMPUTE_PGM_RSRC2:TGID_Z_EN: 0
; COMPUTE_PGM_RSRC2:TIDIG_COMP_CNT: 0
	.text
	.p2alignl 7, 3214868480
	.fill 96, 4, 3214868480
	.type	__hip_cuid_ad56cf180d704579,@object ; @__hip_cuid_ad56cf180d704579
	.section	.bss,"aw",@nobits
	.globl	__hip_cuid_ad56cf180d704579
__hip_cuid_ad56cf180d704579:
	.byte	0                               ; 0x0
	.size	__hip_cuid_ad56cf180d704579, 1

	.ident	"AMD clang version 19.0.0git (https://github.com/RadeonOpenCompute/llvm-project roc-6.4.0 25133 c7fe45cf4b819c5991fe208aaa96edf142730f1d)"
	.section	".note.GNU-stack","",@progbits
	.addrsig
	.addrsig_sym __hip_cuid_ad56cf180d704579
	.amdgpu_metadata
---
amdhsa.kernels:
  - .args:
      - .actual_access:  read_only
        .address_space:  global
        .offset:         0
        .size:           8
        .value_kind:     global_buffer
      - .address_space:  global
        .offset:         8
        .size:           8
        .value_kind:     global_buffer
      - .offset:         16
        .size:           8
        .value_kind:     by_value
      - .actual_access:  read_only
        .address_space:  global
        .offset:         24
        .size:           8
        .value_kind:     global_buffer
      - .actual_access:  read_only
        .address_space:  global
        .offset:         32
        .size:           8
        .value_kind:     global_buffer
      - .offset:         40
        .size:           8
        .value_kind:     by_value
      - .actual_access:  read_only
        .address_space:  global
        .offset:         48
        .size:           8
        .value_kind:     global_buffer
      - .actual_access:  read_only
        .address_space:  global
        .offset:         56
        .size:           8
        .value_kind:     global_buffer
      - .offset:         64
        .size:           4
        .value_kind:     by_value
      - .actual_access:  read_only
        .address_space:  global
        .offset:         72
        .size:           8
        .value_kind:     global_buffer
      - .actual_access:  read_only
        .address_space:  global
        .offset:         80
        .size:           8
        .value_kind:     global_buffer
      - .address_space:  global
        .offset:         88
        .size:           8
        .value_kind:     global_buffer
    .group_segment_fixed_size: 0
    .kernarg_segment_align: 8
    .kernarg_segment_size: 96
    .language:       OpenCL C
    .language_version:
      - 2
      - 0
    .max_flat_workgroup_size: 243
    .name:           fft_rtc_back_len243_factors_3_3_3_3_3_wgs_243_tpt_81_dp_ip_CI_sbcc_twdbase6_3step
    .private_segment_fixed_size: 0
    .sgpr_count:     51
    .sgpr_spill_count: 0
    .symbol:         fft_rtc_back_len243_factors_3_3_3_3_3_wgs_243_tpt_81_dp_ip_CI_sbcc_twdbase6_3step.kd
    .uniform_work_group_size: 1
    .uses_dynamic_stack: false
    .vgpr_count:     64
    .vgpr_spill_count: 0
    .wavefront_size: 32
    .workgroup_processor_mode: 1
amdhsa.target:   amdgcn-amd-amdhsa--gfx1201
amdhsa.version:
  - 1
  - 2
...

	.end_amdgpu_metadata
